;; amdgpu-corpus repo=ROCm/rocFFT kind=compiled arch=gfx1201 opt=O3
	.text
	.amdgcn_target "amdgcn-amd-amdhsa--gfx1201"
	.amdhsa_code_object_version 6
	.protected	fft_rtc_back_len243_factors_9_9_3_wgs_108_tpt_27_halfLds_dim1_dp_op_CI_CI_unitstride_sbrr_R2C_dirReg ; -- Begin function fft_rtc_back_len243_factors_9_9_3_wgs_108_tpt_27_halfLds_dim1_dp_op_CI_CI_unitstride_sbrr_R2C_dirReg
	.globl	fft_rtc_back_len243_factors_9_9_3_wgs_108_tpt_27_halfLds_dim1_dp_op_CI_CI_unitstride_sbrr_R2C_dirReg
	.p2align	8
	.type	fft_rtc_back_len243_factors_9_9_3_wgs_108_tpt_27_halfLds_dim1_dp_op_CI_CI_unitstride_sbrr_R2C_dirReg,@function
fft_rtc_back_len243_factors_9_9_3_wgs_108_tpt_27_halfLds_dim1_dp_op_CI_CI_unitstride_sbrr_R2C_dirReg: ; @fft_rtc_back_len243_factors_9_9_3_wgs_108_tpt_27_halfLds_dim1_dp_op_CI_CI_unitstride_sbrr_R2C_dirReg
; %bb.0:
	s_clause 0x1
	s_load_b64 s[2:3], s[0:1], 0x20
	s_load_b64 s[6:7], s[0:1], 0x0
	v_mul_u32_u24_e32 v2, 0x97c, v0
	v_mov_b32_e32 v15, 0
                                        ; implicit-def: $vgpr19
                                        ; implicit-def: $vgpr12
                                        ; implicit-def: $vgpr17
	s_delay_alu instid0(VALU_DEP_2) | instskip(SKIP_1) | instid1(VALU_DEP_2)
	v_lshrrev_b32_e32 v1, 16, v2
	v_bfe_u32 v2, v2, 16, 2
	v_lshl_add_u32 v14, ttmp9, 2, v1
	s_wait_kmcnt 0x0
	s_delay_alu instid0(VALU_DEP_1) | instskip(SKIP_1) | instid1(VALU_DEP_1)
	v_cmp_gt_u64_e32 vcc_lo, s[2:3], v[14:15]
	v_cmp_le_u64_e64 s2, s[2:3], v[14:15]
                                        ; implicit-def: $vgpr15
	s_and_saveexec_b32 s3, s2
	s_wait_alu 0xfffe
	s_xor_b32 s2, exec_lo, s3
; %bb.1:
	v_and_b32_e32 v1, 0xffff, v0
	s_delay_alu instid0(VALU_DEP_1) | instskip(NEXT) | instid1(VALU_DEP_1)
	v_mul_u32_u24_e32 v1, 0x97c, v1
	v_lshrrev_b32_e32 v1, 16, v1
	s_delay_alu instid0(VALU_DEP_1) | instskip(NEXT) | instid1(VALU_DEP_1)
	v_mul_lo_u16 v1, v1, 27
	v_sub_nc_u16 v19, v0, v1
                                        ; implicit-def: $vgpr1
                                        ; implicit-def: $vgpr0
	s_delay_alu instid0(VALU_DEP_1) | instskip(NEXT) | instid1(VALU_DEP_1)
	v_and_b32_e32 v12, 0xffff, v19
	v_add_nc_u32_e32 v15, 27, v12
	v_add_nc_u32_e32 v17, 54, v12
; %bb.2:
	s_wait_alu 0xfffe
	s_or_saveexec_b32 s3, s2
	s_load_b64 s[4:5], s[0:1], 0x18
	v_mul_u32_u24_e32 v2, 0xf4, v2
	s_delay_alu instid0(VALU_DEP_1)
	v_lshlrev_b32_e32 v2, 4, v2
	s_xor_b32 exec_lo, exec_lo, s3
	s_cbranch_execz .LBB0_4
; %bb.3:
	s_clause 0x1
	s_load_b64 s[8:9], s[0:1], 0x10
	s_load_b64 s[10:11], s[0:1], 0x50
	v_mul_lo_u16 v1, v1, 27
	s_delay_alu instid0(VALU_DEP_1) | instskip(NEXT) | instid1(VALU_DEP_1)
	v_sub_nc_u16 v19, v0, v1
	v_and_b32_e32 v12, 0xffff, v19
	s_delay_alu instid0(VALU_DEP_1)
	v_lshlrev_b32_e32 v11, 4, v12
	v_add_nc_u32_e32 v15, 27, v12
	v_add_nc_u32_e32 v17, 54, v12
	s_wait_kmcnt 0x0
	s_load_b64 s[8:9], s[8:9], 0x8
	s_wait_kmcnt 0x0
	v_mad_co_u64_u32 v[3:4], null, s8, v14, 0
	s_delay_alu instid0(VALU_DEP_1) | instskip(NEXT) | instid1(VALU_DEP_1)
	v_mad_co_u64_u32 v[4:5], null, s9, v14, v[4:5]
	v_lshlrev_b64_e32 v[0:1], 4, v[3:4]
	s_delay_alu instid0(VALU_DEP_1) | instskip(SKIP_1) | instid1(VALU_DEP_2)
	v_add_co_u32 v0, s2, s10, v0
	s_wait_alu 0xf1ff
	v_add_co_ci_u32_e64 v1, s2, s11, v1, s2
	s_delay_alu instid0(VALU_DEP_2) | instskip(SKIP_1) | instid1(VALU_DEP_2)
	v_add_co_u32 v0, s2, v0, v11
	s_wait_alu 0xf1ff
	v_add_co_ci_u32_e64 v1, s2, 0, v1, s2
	s_clause 0x8
	global_load_b128 v[3:6], v[0:1], off
	global_load_b128 v[7:10], v[0:1], off offset:432
	global_load_b128 v[20:23], v[0:1], off offset:864
	;; [unrolled: 1-line block ×8, first 2 shown]
	v_add3_u32 v0, 0, v2, v11
	s_wait_loadcnt 0x8
	ds_store_b128 v0, v[3:6]
	s_wait_loadcnt 0x7
	ds_store_b128 v0, v[7:10] offset:432
	s_wait_loadcnt 0x6
	ds_store_b128 v0, v[20:23] offset:864
	;; [unrolled: 2-line block ×8, first 2 shown]
.LBB0_4:
	s_or_b32 exec_lo, exec_lo, s3
	v_lshlrev_b32_e32 v0, 4, v12
	s_wait_kmcnt 0x0
	s_load_b64 s[4:5], s[4:5], 0x8
	global_wb scope:SCOPE_SE
	s_wait_dscnt 0x0
	s_wait_kmcnt 0x0
	s_barrier_signal -1
	s_barrier_wait -1
	v_add3_u32 v1, 0, v0, v2
	global_inv scope:SCOPE_SE
	v_add_nc_u32_e32 v20, 0, v2
	s_mov_b32 s14, 0x523c161c
	s_mov_b32 s10, 0x8c811c17
	ds_load_b128 v[3:6], v1 offset:432
	ds_load_b128 v[7:10], v1 offset:3456
	;; [unrolled: 1-line block ×6, first 2 shown]
	s_mov_b32 s15, 0x3fe491b7
	v_add_nc_u32_e32 v21, v20, v0
	s_mov_b32 s11, 0x3fef838b
	s_mov_b32 s13, 0xbfe491b7
	s_mov_b32 s12, s14
	s_mov_b32 s16, 0xa2cf5039
	s_mov_b32 s17, 0x3fe8836f
	ds_load_b128 v[38:41], v1 offset:1296
	s_mov_b32 s22, 0x7e0b738b
	s_mov_b32 s23, 0x3fc63a1a
	;; [unrolled: 1-line block ×5, first 2 shown]
	s_wait_alu 0xfffe
	s_mov_b32 s2, s8
	s_mov_b32 s20, 0x748a0bf8
	s_wait_dscnt 0x5
	v_add_f64_e64 v[42:43], v[3:4], -v[7:8]
	v_add_f64_e64 v[46:47], v[5:6], -v[9:10]
	s_wait_dscnt 0x3
	v_add_f64_e64 v[44:45], v[22:23], -v[26:27]
	v_add_f64_e64 v[48:49], v[24:25], -v[28:29]
	v_add_f64_e32 v[50:51], v[3:4], v[7:8]
	s_wait_dscnt 0x1
	v_add_f64_e32 v[52:53], v[34:35], v[30:31]
	v_add_f64_e32 v[54:55], v[36:37], v[32:33]
	;; [unrolled: 1-line block ×5, first 2 shown]
	ds_load_b128 v[7:10], v1 offset:2592
	ds_load_b128 v[3:6], v21
	v_add_f64_e64 v[30:31], v[34:35], -v[30:31]
	v_add_f64_e64 v[32:33], v[36:37], -v[32:33]
	s_mov_b32 s18, 0x42522d1b
	s_mov_b32 s21, 0x3fd5e3a8
	;; [unrolled: 1-line block ×3, first 2 shown]
	v_and_b32_e32 v11, 0xff, v19
	global_wb scope:SCOPE_SE
	s_wait_dscnt 0x0
	s_barrier_signal -1
	s_barrier_wait -1
	global_inv scope:SCOPE_SE
	v_add_f64_e32 v[82:83], v[38:39], v[7:8]
	v_add_f64_e32 v[84:85], v[40:41], v[9:10]
	v_add_f64_e64 v[7:8], v[38:39], -v[7:8]
	v_add_f64_e64 v[9:10], v[40:41], -v[9:10]
	v_mul_f64_e32 v[34:35], s[14:15], v[42:43]
	v_mul_f64_e32 v[36:37], s[14:15], v[46:47]
	;; [unrolled: 1-line block ×6, first 2 shown]
	v_fma_f64 v[70:71], v[50:51], s[16:17], v[3:4]
	v_fma_f64 v[72:73], v[52:53], s[16:17], v[3:4]
	;; [unrolled: 1-line block ×6, first 2 shown]
	v_add_f64_e32 v[86:87], v[44:45], v[42:43]
	v_add_f64_e32 v[88:89], v[48:49], v[46:47]
	;; [unrolled: 1-line block ×4, first 2 shown]
	v_fma_f64 v[34:35], v[30:31], s[10:11], v[34:35]
	v_fma_f64 v[36:37], v[32:33], s[10:11], v[36:37]
	;; [unrolled: 1-line block ×3, first 2 shown]
	v_fma_f64 v[40:41], v[30:31], s[12:13], -v[64:65]
	v_add_f64_e32 v[62:63], v[52:53], v[50:51]
	v_fma_f64 v[64:65], v[46:47], s[10:11], v[66:67]
	v_fma_f64 v[66:67], v[32:33], s[12:13], -v[68:69]
	v_add_f64_e32 v[68:69], v[54:55], v[60:61]
	v_fma_f64 v[70:71], v[52:53], s[22:23], v[70:71]
	v_fma_f64 v[72:73], v[56:57], s[22:23], v[72:73]
	;; [unrolled: 1-line block ×8, first 2 shown]
	s_wait_alu 0xfffe
	v_fma_f64 v[38:39], v[7:8], s[2:3], v[38:39]
	v_fma_f64 v[7:8], v[7:8], s[8:9], v[40:41]
	v_add_f64_e32 v[40:41], v[56:57], v[62:63]
	v_fma_f64 v[64:65], v[9:10], s[2:3], v[64:65]
	v_fma_f64 v[9:10], v[9:10], s[8:9], v[66:67]
	v_add_f64_e32 v[66:67], v[58:59], v[68:69]
	v_add_f64_e32 v[62:63], v[82:83], v[62:63]
	;; [unrolled: 1-line block ×3, first 2 shown]
	v_fma_f64 v[70:71], v[82:83], -0.5, v[70:71]
	v_fma_f64 v[72:73], v[82:83], -0.5, v[72:73]
	;; [unrolled: 1-line block ×6, first 2 shown]
	v_add_f64_e64 v[82:83], v[86:87], -v[30:31]
	v_add_f64_e64 v[84:85], v[88:89], -v[32:33]
	v_fma_f64 v[44:45], v[44:45], s[20:21], v[34:35]
	v_fma_f64 v[48:49], v[48:49], s[20:21], v[36:37]
	v_fma_f64 v[40:41], v[40:41], -0.5, v[90:91]
	v_fma_f64 v[46:47], v[46:47], s[20:21], v[9:10]
	v_fma_f64 v[66:67], v[66:67], -0.5, v[92:93]
	v_add_f64_e32 v[22:23], v[22:23], v[62:63]
	v_add_f64_e32 v[24:25], v[24:25], v[68:69]
	v_fma_f64 v[34:35], v[56:57], s[18:19], v[70:71]
	v_fma_f64 v[56:57], v[30:31], s[20:21], v[38:39]
	;; [unrolled: 1-line block ×9, first 2 shown]
	v_mul_f64_e32 v[50:51], s[8:9], v[82:83]
	v_mul_f64_e32 v[52:53], s[8:9], v[84:85]
	v_fma_f64 v[7:8], v[84:85], s[2:3], v[40:41]
	v_fma_f64 v[9:10], v[82:83], s[8:9], v[66:67]
	v_add_f64_e32 v[54:55], v[26:27], v[22:23]
	v_add_f64_e32 v[58:59], v[28:29], v[24:25]
	v_add_f64_e64 v[22:23], v[34:35], -v[48:49]
	v_add_f64_e64 v[26:27], v[30:31], -v[46:47]
	v_add_f64_e32 v[28:29], v[64:65], v[32:33]
	v_add_f64_e64 v[30:31], v[36:37], -v[62:63]
	v_add_f64_e32 v[32:33], v[56:57], v[38:39]
	v_add_f64_e32 v[24:25], v[44:45], v[42:43]
	v_fma_f64 v[38:39], v[52:53], 2.0, v[7:8]
	v_fma_f64 v[40:41], v[50:51], -2.0, v[9:10]
	v_add_f64_e32 v[34:35], v[3:4], v[54:55]
	v_add_f64_e32 v[36:37], v[5:6], v[58:59]
	v_fma_f64 v[42:43], v[48:49], 2.0, v[22:23]
	v_mul_lo_u16 v3, v11, 57
	v_lshl_add_u32 v5, v12, 7, v1
	v_fma_f64 v[46:47], v[46:47], 2.0, v[26:27]
	v_fma_f64 v[48:49], v[64:65], -2.0, v[28:29]
	v_fma_f64 v[50:51], v[62:63], 2.0, v[30:31]
	v_fma_f64 v[52:53], v[56:57], -2.0, v[32:33]
	v_fma_f64 v[44:45], v[44:45], -2.0, v[24:25]
	v_lshrrev_b16 v4, 9, v3
	ds_store_b128 v5, v[34:37]
	ds_store_b128 v5, v[22:25] offset:16
	ds_store_b128 v5, v[30:33] offset:32
	;; [unrolled: 1-line block ×8, first 2 shown]
	v_mul_lo_u16 v3, v4, 9
	global_wb scope:SCOPE_SE
	s_wait_dscnt 0x0
	s_barrier_signal -1
	s_barrier_wait -1
	global_inv scope:SCOPE_SE
	v_sub_nc_u16 v3, v19, v3
	v_lshl_add_u32 v23, v15, 4, v20
	v_lshl_add_u32 v22, v17, 4, v20
	v_and_b32_e32 v4, 0xffff, v4
	s_delay_alu instid0(VALU_DEP_4) | instskip(NEXT) | instid1(VALU_DEP_2)
	v_and_b32_e32 v3, 0xff, v3
	v_mad_u32_u24 v4, 0x510, v4, 0
	s_delay_alu instid0(VALU_DEP_2)
	v_lshlrev_b32_e32 v11, 7, v3
	s_clause 0x7
	global_load_b128 v[5:8], v11, s[6:7]
	global_load_b128 v[24:27], v11, s[6:7] offset:48
	global_load_b128 v[28:31], v11, s[6:7] offset:112
	;; [unrolled: 1-line block ×7, first 2 shown]
	ds_load_b128 v[52:55], v23
	ds_load_b128 v[56:59], v1 offset:3456
	v_lshlrev_b32_e32 v3, 4, v3
	s_delay_alu instid0(VALU_DEP_1)
	v_add3_u32 v2, v4, v3, v2
	s_wait_loadcnt_dscnt 0x701
	v_mul_f64_e32 v[72:73], v[54:55], v[7:8]
	v_mul_f64_e32 v[74:75], v[52:53], v[7:8]
	ds_load_b128 v[7:10], v1 offset:1728
	ds_load_b128 v[60:63], v1 offset:2160
	ds_load_b128 v[64:67], v22
	ds_load_b128 v[68:71], v1 offset:3024
	s_wait_loadcnt_dscnt 0x504
	v_mul_f64_e32 v[78:79], v[58:59], v[30:31]
	v_mul_f64_e32 v[30:31], v[56:57], v[30:31]
	s_wait_dscnt 0x3
	v_mul_f64_e32 v[76:77], v[9:10], v[26:27]
	s_wait_loadcnt_dscnt 0x402
	v_mul_f64_e32 v[80:81], v[62:63], v[34:35]
	v_mul_f64_e32 v[26:27], v[7:8], v[26:27]
	;; [unrolled: 1-line block ×3, first 2 shown]
	s_wait_loadcnt_dscnt 0x301
	v_mul_f64_e32 v[82:83], v[66:67], v[38:39]
	s_wait_loadcnt_dscnt 0x200
	v_mul_f64_e32 v[84:85], v[70:71], v[42:43]
	v_mul_f64_e32 v[38:39], v[64:65], v[38:39]
	;; [unrolled: 1-line block ×3, first 2 shown]
	v_fma_f64 v[52:53], v[52:53], v[5:6], v[72:73]
	v_fma_f64 v[54:55], v[54:55], v[5:6], -v[74:75]
	v_fma_f64 v[56:57], v[56:57], v[28:29], v[78:79]
	v_fma_f64 v[28:29], v[58:59], v[28:29], -v[30:31]
	v_fma_f64 v[72:73], v[7:8], v[24:25], v[76:77]
	v_fma_f64 v[60:61], v[60:61], v[32:33], v[80:81]
	v_fma_f64 v[9:10], v[9:10], v[24:25], -v[26:27]
	v_fma_f64 v[32:33], v[62:63], v[32:33], -v[34:35]
	v_fma_f64 v[34:35], v[64:65], v[36:37], v[82:83]
	v_fma_f64 v[58:59], v[68:69], v[40:41], v[84:85]
	v_fma_f64 v[36:37], v[66:67], v[36:37], -v[38:39]
	v_fma_f64 v[38:39], v[70:71], v[40:41], -v[42:43]
	ds_load_b128 v[5:8], v1 offset:2592
	ds_load_b128 v[24:27], v1 offset:1296
	v_add_f64_e64 v[62:63], v[52:53], -v[56:57]
	v_add_f64_e64 v[66:67], v[54:55], -v[28:29]
	v_add_f64_e32 v[52:53], v[52:53], v[56:57]
	v_add_f64_e32 v[54:55], v[54:55], v[28:29]
	ds_load_b128 v[28:31], v21
	global_wb scope:SCOPE_SE
	s_wait_loadcnt_dscnt 0x0
	s_barrier_signal -1
	v_mul_f64_e32 v[40:41], v[26:27], v[46:47]
	v_mul_f64_e32 v[42:43], v[24:25], v[46:47]
	;; [unrolled: 1-line block ×4, first 2 shown]
	s_barrier_wait -1
	global_inv scope:SCOPE_SE
	v_add_f64_e64 v[64:65], v[72:73], -v[60:61]
	v_add_f64_e32 v[56:57], v[72:73], v[60:61]
	v_add_f64_e64 v[68:69], v[9:10], -v[32:33]
	v_add_f64_e32 v[74:75], v[9:10], v[32:33]
	v_add_f64_e32 v[70:71], v[34:35], v[58:59]
	v_add_f64_e64 v[34:35], v[34:35], -v[58:59]
	v_add_f64_e32 v[76:77], v[36:37], v[38:39]
	v_add_f64_e64 v[36:37], v[36:37], -v[38:39]
	v_mul_f64_e32 v[38:39], s[14:15], v[66:67]
	v_fma_f64 v[80:81], v[54:55], s[16:17], v[30:31]
	v_fma_f64 v[24:25], v[24:25], v[44:45], v[40:41]
	v_fma_f64 v[26:27], v[26:27], v[44:45], -v[42:43]
	v_fma_f64 v[5:6], v[5:6], v[48:49], v[46:47]
	v_fma_f64 v[7:8], v[7:8], v[48:49], -v[50:51]
	v_mul_f64_e32 v[40:41], s[14:15], v[62:63]
	v_fma_f64 v[50:51], v[52:53], s[16:17], v[28:29]
	v_mul_f64_e32 v[42:43], s[12:13], v[64:65]
	v_mul_f64_e32 v[44:45], s[10:11], v[64:65]
	;; [unrolled: 1-line block ×4, first 2 shown]
	v_fma_f64 v[58:59], v[56:57], s[16:17], v[28:29]
	v_fma_f64 v[78:79], v[70:71], s[16:17], v[28:29]
	;; [unrolled: 1-line block ×4, first 2 shown]
	v_add_f64_e32 v[88:89], v[76:77], v[54:55]
	v_add_f64_e32 v[90:91], v[64:65], v[62:63]
	;; [unrolled: 1-line block ×3, first 2 shown]
	v_fma_f64 v[38:39], v[36:37], s[10:11], v[38:39]
	v_fma_f64 v[80:81], v[76:77], s[22:23], v[80:81]
	v_add_f64_e32 v[86:87], v[24:25], v[5:6]
	v_add_f64_e64 v[5:6], v[24:25], -v[5:6]
	v_fma_f64 v[24:25], v[34:35], s[10:11], v[40:41]
	v_fma_f64 v[40:41], v[62:63], s[10:11], v[42:43]
	v_fma_f64 v[42:43], v[34:35], s[12:13], -v[44:45]
	v_add_f64_e64 v[44:45], v[26:27], -v[7:8]
	v_fma_f64 v[46:47], v[66:67], s[10:11], v[46:47]
	v_fma_f64 v[48:49], v[36:37], s[12:13], -v[48:49]
	v_add_f64_e32 v[7:8], v[26:27], v[7:8]
	v_fma_f64 v[26:27], v[70:71], s[22:23], v[50:51]
	v_fma_f64 v[50:51], v[52:53], s[22:23], v[58:59]
	v_fma_f64 v[58:59], v[56:57], s[22:23], v[78:79]
	v_add_f64_e32 v[78:79], v[70:71], v[52:53]
	v_fma_f64 v[82:83], v[54:55], s[22:23], v[82:83]
	v_fma_f64 v[84:85], v[74:75], s[22:23], v[84:85]
	v_add_f64_e64 v[90:91], v[90:91], -v[34:35]
	v_add_f64_e64 v[92:93], v[92:93], -v[36:37]
	v_fma_f64 v[24:25], v[5:6], s[8:9], v[24:25]
	v_fma_f64 v[40:41], v[5:6], s[2:3], v[40:41]
	;; [unrolled: 1-line block ×3, first 2 shown]
	v_add_f64_e32 v[42:43], v[28:29], v[86:87]
	v_fma_f64 v[38:39], v[44:45], s[8:9], v[38:39]
	v_fma_f64 v[46:47], v[44:45], s[2:3], v[46:47]
	;; [unrolled: 1-line block ×3, first 2 shown]
	v_add_f64_e32 v[48:49], v[30:31], v[7:8]
	v_fma_f64 v[26:27], v[86:87], -0.5, v[26:27]
	v_fma_f64 v[50:51], v[86:87], -0.5, v[50:51]
	;; [unrolled: 1-line block ×3, first 2 shown]
	v_add_f64_e32 v[86:87], v[86:87], v[78:79]
	v_fma_f64 v[80:81], v[7:8], -0.5, v[80:81]
	v_fma_f64 v[82:83], v[7:8], -0.5, v[82:83]
	;; [unrolled: 1-line block ×3, first 2 shown]
	v_add_f64_e32 v[7:8], v[7:8], v[88:89]
	v_add_f64_e32 v[78:79], v[56:57], v[78:79]
	;; [unrolled: 1-line block ×3, first 2 shown]
	v_fma_f64 v[62:63], v[62:63], s[20:21], v[5:6]
	v_fma_f64 v[46:47], v[36:37], s[20:21], v[46:47]
	;; [unrolled: 1-line block ×3, first 2 shown]
	v_mul_f64_e32 v[44:45], s[8:9], v[90:91]
	v_fma_f64 v[36:37], v[70:71], s[18:19], v[50:51]
	v_mul_f64_e32 v[50:51], s[8:9], v[92:93]
	v_add_f64_e32 v[72:73], v[72:73], v[86:87]
	v_add_f64_e32 v[7:8], v[9:10], v[7:8]
	v_fma_f64 v[42:43], v[78:79], -0.5, v[42:43]
	v_fma_f64 v[9:10], v[64:65], s[20:21], v[24:25]
	v_fma_f64 v[24:25], v[56:57], s[18:19], v[26:27]
	;; [unrolled: 1-line block ×5, first 2 shown]
	v_fma_f64 v[48:49], v[88:89], -0.5, v[48:49]
	v_fma_f64 v[64:65], v[68:69], s[20:21], v[38:39]
	v_fma_f64 v[38:39], v[76:77], s[18:19], v[82:83]
	;; [unrolled: 1-line block ×3, first 2 shown]
	v_dual_mov_b32 v59, 0 :: v_dual_lshlrev_b32 v58, 1, v12
	v_add_f64_e64 v[36:37], v[36:37], -v[46:47]
	v_add_f64_e32 v[52:53], v[60:61], v[72:73]
	v_add_f64_e32 v[54:55], v[32:33], v[7:8]
	v_fma_f64 v[5:6], v[92:93], s[2:3], v[42:43]
	v_add_f64_e64 v[32:33], v[26:27], -v[66:67]
	v_add_f64_e32 v[34:35], v[62:63], v[34:35]
	v_fma_f64 v[7:8], v[90:91], s[8:9], v[48:49]
	v_add_f64_e64 v[24:25], v[24:25], -v[64:65]
	v_add_f64_e32 v[38:39], v[56:57], v[38:39]
	v_add_f64_e32 v[26:27], v[9:10], v[40:41]
	;; [unrolled: 1-line block ×3, first 2 shown]
	v_fma_f64 v[52:53], v[46:47], 2.0, v[36:37]
	v_add_f64_e32 v[30:31], v[30:31], v[54:55]
	v_fma_f64 v[40:41], v[50:51], 2.0, v[5:6]
	v_fma_f64 v[48:49], v[66:67], 2.0, v[32:33]
	v_fma_f64 v[50:51], v[62:63], -2.0, v[34:35]
	v_fma_f64 v[42:43], v[44:45], -2.0, v[7:8]
	v_fma_f64 v[44:45], v[64:65], 2.0, v[24:25]
	v_fma_f64 v[54:55], v[56:57], -2.0, v[38:39]
	v_fma_f64 v[46:47], v[9:10], -2.0, v[26:27]
	v_lshlrev_b64_e32 v[9:10], 4, v[58:59]
	v_lshlrev_b32_e32 v58, 1, v15
	ds_store_b128 v2, v[28:31]
	ds_store_b128 v2, v[24:27] offset:144
	ds_store_b128 v2, v[36:39] offset:288
	;; [unrolled: 1-line block ×8, first 2 shown]
	v_lshlrev_b64_e32 v[56:57], 4, v[58:59]
	v_lshlrev_b32_e32 v58, 1, v17
	v_add_co_u32 v9, s2, s6, v9
	s_wait_alu 0xf1ff
	v_add_co_ci_u32_e64 v10, s2, s7, v10, s2
	s_delay_alu instid0(VALU_DEP_3)
	v_lshlrev_b64_e32 v[58:59], 4, v[58:59]
	v_add_co_u32 v56, s2, s6, v56
	s_wait_alu 0xf1ff
	v_add_co_ci_u32_e64 v57, s2, s7, v57, s2
	global_wb scope:SCOPE_SE
	s_wait_dscnt 0x0
	s_barrier_signal -1
	s_barrier_wait -1
	global_inv scope:SCOPE_SE
	s_clause 0x1
	global_load_b128 v[2:5], v[9:10], off offset:1168
	global_load_b128 v[6:9], v[9:10], off offset:1152
	v_add_co_u32 v10, s2, s6, v58
	s_wait_alu 0xf1ff
	v_add_co_ci_u32_e64 v11, s2, s7, v59, s2
	s_clause 0x3
	global_load_b128 v[24:27], v[56:57], off offset:1152
	global_load_b128 v[28:31], v[56:57], off offset:1168
	global_load_b128 v[32:35], v[10:11], off offset:1152
	global_load_b128 v[36:39], v[10:11], off offset:1168
	ds_load_b128 v[40:43], v1 offset:1296
	ds_load_b128 v[44:47], v1 offset:2592
	;; [unrolled: 1-line block ×6, first 2 shown]
	s_mov_b32 s2, 0xe8584caa
	s_wait_alu 0xfffe
	s_mov_b32 s8, s2
	s_wait_loadcnt_dscnt 0x504
	v_mul_f64_e32 v[64:65], v[46:47], v[4:5]
	s_wait_loadcnt 0x4
	v_mul_f64_e32 v[10:11], v[42:43], v[8:9]
	v_mul_f64_e32 v[8:9], v[40:41], v[8:9]
	;; [unrolled: 1-line block ×3, first 2 shown]
	s_wait_loadcnt_dscnt 0x303
	v_mul_f64_e32 v[66:67], v[50:51], v[26:27]
	s_wait_loadcnt_dscnt 0x202
	v_mul_f64_e32 v[68:69], v[54:55], v[30:31]
	v_mul_f64_e32 v[26:27], v[48:49], v[26:27]
	;; [unrolled: 1-line block ×3, first 2 shown]
	s_wait_loadcnt_dscnt 0x101
	v_mul_f64_e32 v[70:71], v[58:59], v[34:35]
	s_wait_loadcnt_dscnt 0x0
	v_mul_f64_e32 v[72:73], v[62:63], v[38:39]
	v_mul_f64_e32 v[34:35], v[56:57], v[34:35]
	;; [unrolled: 1-line block ×3, first 2 shown]
	v_fma_f64 v[10:11], v[40:41], v[6:7], v[10:11]
	v_fma_f64 v[40:41], v[44:45], v[2:3], v[64:65]
	v_fma_f64 v[42:43], v[42:43], v[6:7], -v[8:9]
	v_fma_f64 v[44:45], v[46:47], v[2:3], -v[4:5]
	v_fma_f64 v[46:47], v[48:49], v[24:25], v[66:67]
	v_fma_f64 v[48:49], v[52:53], v[28:29], v[68:69]
	v_fma_f64 v[50:51], v[50:51], v[24:25], -v[26:27]
	v_fma_f64 v[28:29], v[54:55], v[28:29], -v[30:31]
	;; [unrolled: 4-line block ×3, first 2 shown]
	ds_load_b128 v[2:5], v21
	ds_load_b128 v[6:9], v23
	;; [unrolled: 1-line block ×3, first 2 shown]
	global_wb scope:SCOPE_SE
	s_wait_dscnt 0x0
	s_barrier_signal -1
	s_barrier_wait -1
	global_inv scope:SCOPE_SE
	v_add_f64_e32 v[62:63], v[2:3], v[10:11]
	v_add_f64_e32 v[36:37], v[10:11], v[40:41]
	v_add_f64_e64 v[10:11], v[10:11], -v[40:41]
	v_add_f64_e32 v[38:39], v[42:43], v[44:45]
	v_add_f64_e64 v[64:65], v[42:43], -v[44:45]
	v_add_f64_e32 v[54:55], v[46:47], v[48:49]
	v_add_f64_e32 v[42:43], v[4:5], v[42:43]
	;; [unrolled: 1-line block ×8, first 2 shown]
	v_add_f64_e64 v[50:51], v[50:51], -v[28:29]
	v_add_f64_e64 v[46:47], v[46:47], -v[48:49]
	v_add_f64_e32 v[70:71], v[24:25], v[30:31]
	v_add_f64_e64 v[74:75], v[32:33], -v[34:35]
	v_add_f64_e64 v[76:77], v[30:31], -v[52:53]
	v_fma_f64 v[36:37], v[36:37], -0.5, v[2:3]
	v_add_f64_e32 v[2:3], v[62:63], v[40:41]
	v_fma_f64 v[38:39], v[38:39], -0.5, v[4:5]
	v_fma_f64 v[54:55], v[54:55], -0.5, v[6:7]
	v_add_f64_e32 v[4:5], v[42:43], v[44:45]
	v_fma_f64 v[56:57], v[56:57], -0.5, v[8:9]
	v_add_f64_e32 v[8:9], v[68:69], v[28:29]
	v_fma_f64 v[58:59], v[58:59], -0.5, v[24:25]
	v_fma_f64 v[60:61], v[60:61], -0.5, v[26:27]
	v_add_f64_e32 v[26:27], v[72:73], v[34:35]
	v_add_f64_e32 v[6:7], v[66:67], v[48:49]
	;; [unrolled: 1-line block ×3, first 2 shown]
	v_fma_f64 v[28:29], v[64:65], s[2:3], v[36:37]
	s_wait_alu 0xfffe
	v_fma_f64 v[32:33], v[64:65], s[8:9], v[36:37]
	v_fma_f64 v[30:31], v[10:11], s[8:9], v[38:39]
	;; [unrolled: 1-line block ×11, first 2 shown]
	ds_store_b128 v1, v[2:5]
	ds_store_b128 v1, v[28:31] offset:1296
	ds_store_b128 v1, v[32:35] offset:2592
	ds_store_b128 v23, v[6:9]
	ds_store_b128 v23, v[36:39] offset:1296
	ds_store_b128 v23, v[40:43] offset:2592
	;; [unrolled: 3-line block ×3, first 2 shown]
	global_wb scope:SCOPE_SE
	s_wait_dscnt 0x0
	s_barrier_signal -1
	s_barrier_wait -1
	global_inv scope:SCOPE_SE
	ds_load_b128 v[8:11], v21
	v_sub_nc_u32_e32 v24, v20, v0
	v_cmp_ne_u16_e64 s2, 0, v19
                                        ; implicit-def: $vgpr2_vgpr3
                                        ; implicit-def: $vgpr6_vgpr7
	s_delay_alu instid0(VALU_DEP_1)
	s_and_saveexec_b32 s3, s2
	s_wait_alu 0xfffe
	s_xor_b32 s2, exec_lo, s3
	s_cbranch_execz .LBB0_6
; %bb.5:
	v_and_b32_e32 v0, 0xffff, v19
	ds_load_b128 v[25:28], v24 offset:3888
	v_lshlrev_b32_e32 v0, 4, v0
	global_load_b128 v[2:5], v0, s[6:7] offset:3744
	s_wait_dscnt 0x0
	v_add_f64_e64 v[0:1], v[8:9], -v[25:26]
	v_add_f64_e32 v[6:7], v[10:11], v[27:28]
	v_add_f64_e64 v[10:11], v[10:11], -v[27:28]
	s_delay_alu instid0(VALU_DEP_3) | instskip(SKIP_1) | instid1(VALU_DEP_4)
	v_mul_f64_e32 v[27:28], 0.5, v[0:1]
	v_add_f64_e32 v[0:1], v[8:9], v[25:26]
	v_mul_f64_e32 v[8:9], 0.5, v[6:7]
	s_delay_alu instid0(VALU_DEP_4) | instskip(SKIP_1) | instid1(VALU_DEP_4)
	v_mul_f64_e32 v[6:7], 0.5, v[10:11]
	s_wait_loadcnt 0x0
	v_mul_f64_e32 v[10:11], v[27:28], v[4:5]
	s_delay_alu instid0(VALU_DEP_2) | instskip(NEXT) | instid1(VALU_DEP_2)
	v_fma_f64 v[25:26], v[8:9], v[4:5], v[6:7]
	v_fma_f64 v[29:30], v[0:1], 0.5, v[10:11]
	v_fma_f64 v[0:1], v[0:1], 0.5, -v[10:11]
	v_fma_f64 v[10:11], v[8:9], v[4:5], -v[6:7]
	s_delay_alu instid0(VALU_DEP_4) | instskip(NEXT) | instid1(VALU_DEP_4)
	v_fma_f64 v[6:7], -v[2:3], v[27:28], v[25:26]
	v_fma_f64 v[4:5], v[8:9], v[2:3], v[29:30]
	s_delay_alu instid0(VALU_DEP_4) | instskip(NEXT) | instid1(VALU_DEP_4)
	v_fma_f64 v[0:1], -v[8:9], v[2:3], v[0:1]
	v_fma_f64 v[2:3], -v[2:3], v[27:28], v[10:11]
                                        ; implicit-def: $vgpr8_vgpr9
.LBB0_6:
	s_wait_alu 0xfffe
	s_and_not1_saveexec_b32 s2, s2
	s_cbranch_execz .LBB0_8
; %bb.7:
	s_wait_dscnt 0x0
	v_add_f64_e32 v[4:5], v[8:9], v[10:11]
	v_add_f64_e64 v[0:1], v[8:9], -v[10:11]
	v_mov_b32_e32 v6, 0
	v_mov_b32_e32 v7, 0
	s_delay_alu instid0(VALU_DEP_1)
	v_dual_mov_b32 v2, v6 :: v_dual_mov_b32 v3, v7
.LBB0_8:
	s_wait_alu 0xfffe
	s_or_b32 exec_lo, exec_lo, s2
	v_mov_b32_e32 v16, 0
	s_wait_dscnt 0x0
	s_delay_alu instid0(VALU_DEP_1) | instskip(SKIP_1) | instid1(VALU_DEP_1)
	v_lshlrev_b64_e32 v[8:9], 4, v[15:16]
	v_dual_mov_b32 v18, v16 :: v_dual_mov_b32 v13, v16
	v_lshlrev_b64_e32 v[17:18], 4, v[17:18]
	s_delay_alu instid0(VALU_DEP_3) | instskip(SKIP_1) | instid1(VALU_DEP_4)
	v_add_co_u32 v8, s2, s6, v8
	s_wait_alu 0xf1ff
	v_add_co_ci_u32_e64 v9, s2, s7, v9, s2
	s_delay_alu instid0(VALU_DEP_3)
	v_add_co_u32 v17, s2, s6, v17
	global_load_b128 v[8:11], v[8:9], off offset:3744
	s_wait_alu 0xf1ff
	v_add_co_ci_u32_e64 v18, s2, s7, v18, s2
	s_add_nc_u64 s[2:3], s[6:7], 0xea0
	global_load_b128 v[25:28], v[17:18], off offset:3744
	ds_store_b128 v21, v[4:7]
	ds_store_b128 v24, v[0:3] offset:3888
	ds_load_b128 v[0:3], v23
	ds_load_b128 v[4:7], v24 offset:3456
	s_wait_dscnt 0x0
	v_add_f64_e64 v[17:18], v[0:1], -v[4:5]
	v_add_f64_e32 v[29:30], v[2:3], v[6:7]
	v_add_f64_e64 v[2:3], v[2:3], -v[6:7]
	v_add_f64_e32 v[0:1], v[0:1], v[4:5]
	s_delay_alu instid0(VALU_DEP_4) | instskip(NEXT) | instid1(VALU_DEP_4)
	v_mul_f64_e32 v[6:7], 0.5, v[17:18]
	v_mul_f64_e32 v[17:18], 0.5, v[29:30]
	s_delay_alu instid0(VALU_DEP_4) | instskip(SKIP_1) | instid1(VALU_DEP_3)
	v_mul_f64_e32 v[2:3], 0.5, v[2:3]
	s_wait_loadcnt 0x1
	v_mul_f64_e32 v[4:5], v[6:7], v[10:11]
	s_delay_alu instid0(VALU_DEP_2) | instskip(SKIP_1) | instid1(VALU_DEP_3)
	v_fma_f64 v[29:30], v[17:18], v[10:11], v[2:3]
	v_fma_f64 v[2:3], v[17:18], v[10:11], -v[2:3]
	v_fma_f64 v[31:32], v[0:1], 0.5, v[4:5]
	v_fma_f64 v[0:1], v[0:1], 0.5, -v[4:5]
	s_delay_alu instid0(VALU_DEP_4) | instskip(NEXT) | instid1(VALU_DEP_4)
	v_fma_f64 v[4:5], -v[8:9], v[6:7], v[29:30]
	v_fma_f64 v[10:11], -v[8:9], v[6:7], v[2:3]
	s_delay_alu instid0(VALU_DEP_4) | instskip(NEXT) | instid1(VALU_DEP_4)
	v_fma_f64 v[2:3], v[17:18], v[8:9], v[31:32]
	v_fma_f64 v[8:9], -v[17:18], v[8:9], v[0:1]
	v_lshlrev_b64_e32 v[0:1], 4, v[12:13]
	s_wait_alu 0xfffe
	s_delay_alu instid0(VALU_DEP_1) | instskip(SKIP_1) | instid1(VALU_DEP_2)
	v_add_co_u32 v0, s2, s2, v0
	s_wait_alu 0xf1ff
	v_add_co_ci_u32_e64 v1, s2, s3, v1, s2
	s_mov_b32 s3, exec_lo
	global_load_b128 v[15:18], v[0:1], off offset:1296
	ds_store_b128 v23, v[2:5]
	ds_store_b128 v24, v[8:11] offset:3456
	ds_load_b128 v[2:5], v22
	ds_load_b128 v[6:9], v24 offset:3024
	s_wait_dscnt 0x0
	v_add_f64_e64 v[10:11], v[2:3], -v[6:7]
	v_add_f64_e32 v[29:30], v[4:5], v[8:9]
	v_add_f64_e64 v[4:5], v[4:5], -v[8:9]
	v_add_f64_e32 v[2:3], v[2:3], v[6:7]
	s_delay_alu instid0(VALU_DEP_4) | instskip(NEXT) | instid1(VALU_DEP_4)
	v_mul_f64_e32 v[8:9], 0.5, v[10:11]
	v_mul_f64_e32 v[10:11], 0.5, v[29:30]
	s_delay_alu instid0(VALU_DEP_4) | instskip(SKIP_1) | instid1(VALU_DEP_3)
	v_mul_f64_e32 v[4:5], 0.5, v[4:5]
	s_wait_loadcnt 0x1
	v_mul_f64_e32 v[6:7], v[8:9], v[27:28]
	s_delay_alu instid0(VALU_DEP_2) | instskip(SKIP_1) | instid1(VALU_DEP_3)
	v_fma_f64 v[29:30], v[10:11], v[27:28], v[4:5]
	v_fma_f64 v[27:28], v[10:11], v[27:28], -v[4:5]
	v_fma_f64 v[31:32], v[2:3], 0.5, v[6:7]
	v_fma_f64 v[6:7], v[2:3], 0.5, -v[6:7]
	s_delay_alu instid0(VALU_DEP_4) | instskip(NEXT) | instid1(VALU_DEP_4)
	v_fma_f64 v[4:5], -v[25:26], v[8:9], v[29:30]
	v_fma_f64 v[8:9], -v[25:26], v[8:9], v[27:28]
	s_delay_alu instid0(VALU_DEP_4) | instskip(NEXT) | instid1(VALU_DEP_4)
	v_fma_f64 v[2:3], v[10:11], v[25:26], v[31:32]
	v_fma_f64 v[6:7], -v[10:11], v[25:26], v[6:7]
	ds_store_b128 v22, v[2:5]
	ds_store_b128 v24, v[6:9] offset:3024
	ds_load_b128 v[2:5], v21 offset:1296
	ds_load_b128 v[6:9], v24 offset:2592
	s_wait_dscnt 0x0
	v_add_f64_e64 v[10:11], v[2:3], -v[6:7]
	v_add_f64_e32 v[22:23], v[4:5], v[8:9]
	v_add_f64_e64 v[4:5], v[4:5], -v[8:9]
	v_add_f64_e32 v[2:3], v[2:3], v[6:7]
	s_delay_alu instid0(VALU_DEP_4) | instskip(NEXT) | instid1(VALU_DEP_4)
	v_mul_f64_e32 v[8:9], 0.5, v[10:11]
	v_mul_f64_e32 v[10:11], 0.5, v[22:23]
	s_delay_alu instid0(VALU_DEP_4) | instskip(SKIP_1) | instid1(VALU_DEP_3)
	v_mul_f64_e32 v[4:5], 0.5, v[4:5]
	s_wait_loadcnt 0x0
	v_mul_f64_e32 v[6:7], v[8:9], v[17:18]
	s_delay_alu instid0(VALU_DEP_2) | instskip(SKIP_1) | instid1(VALU_DEP_3)
	v_fma_f64 v[22:23], v[10:11], v[17:18], v[4:5]
	v_fma_f64 v[17:18], v[10:11], v[17:18], -v[4:5]
	v_fma_f64 v[25:26], v[2:3], 0.5, v[6:7]
	v_fma_f64 v[6:7], v[2:3], 0.5, -v[6:7]
	s_delay_alu instid0(VALU_DEP_4) | instskip(NEXT) | instid1(VALU_DEP_4)
	v_fma_f64 v[4:5], -v[15:16], v[8:9], v[22:23]
	v_fma_f64 v[8:9], -v[15:16], v[8:9], v[17:18]
	s_delay_alu instid0(VALU_DEP_4) | instskip(NEXT) | instid1(VALU_DEP_4)
	v_fma_f64 v[2:3], v[10:11], v[15:16], v[25:26]
	v_fma_f64 v[6:7], -v[10:11], v[15:16], v[6:7]
	ds_store_b128 v21, v[2:5] offset:1296
	ds_store_b128 v24, v[6:9] offset:2592
	v_cmpx_gt_u16_e32 14, v19
	s_cbranch_execz .LBB0_10
; %bb.9:
	global_load_b128 v[0:3], v[0:1], off offset:1728
	ds_load_b128 v[4:7], v21 offset:1728
	ds_load_b128 v[8:11], v24 offset:2160
	s_wait_dscnt 0x0
	v_add_f64_e64 v[15:16], v[4:5], -v[8:9]
	v_add_f64_e32 v[17:18], v[6:7], v[10:11]
	v_add_f64_e64 v[6:7], v[6:7], -v[10:11]
	v_add_f64_e32 v[4:5], v[4:5], v[8:9]
	s_delay_alu instid0(VALU_DEP_4) | instskip(NEXT) | instid1(VALU_DEP_4)
	v_mul_f64_e32 v[10:11], 0.5, v[15:16]
	v_mul_f64_e32 v[15:16], 0.5, v[17:18]
	s_delay_alu instid0(VALU_DEP_4) | instskip(SKIP_1) | instid1(VALU_DEP_3)
	v_mul_f64_e32 v[6:7], 0.5, v[6:7]
	s_wait_loadcnt 0x0
	v_mul_f64_e32 v[8:9], v[10:11], v[2:3]
	s_delay_alu instid0(VALU_DEP_2) | instskip(SKIP_1) | instid1(VALU_DEP_3)
	v_fma_f64 v[17:18], v[15:16], v[2:3], v[6:7]
	v_fma_f64 v[2:3], v[15:16], v[2:3], -v[6:7]
	v_fma_f64 v[6:7], v[4:5], 0.5, v[8:9]
	v_fma_f64 v[22:23], v[4:5], 0.5, -v[8:9]
	s_delay_alu instid0(VALU_DEP_4) | instskip(NEXT) | instid1(VALU_DEP_4)
	v_fma_f64 v[4:5], -v[0:1], v[10:11], v[17:18]
	v_fma_f64 v[8:9], -v[0:1], v[10:11], v[2:3]
	s_delay_alu instid0(VALU_DEP_4) | instskip(NEXT) | instid1(VALU_DEP_4)
	v_fma_f64 v[2:3], v[15:16], v[0:1], v[6:7]
	v_fma_f64 v[6:7], -v[15:16], v[0:1], v[22:23]
	ds_store_b128 v21, v[2:5] offset:1728
	ds_store_b128 v24, v[6:9] offset:2160
.LBB0_10:
	s_wait_alu 0xfffe
	s_or_b32 exec_lo, exec_lo, s3
	global_wb scope:SCOPE_SE
	s_wait_dscnt 0x0
	s_barrier_signal -1
	s_barrier_wait -1
	global_inv scope:SCOPE_SE
	s_and_saveexec_b32 s2, vcc_lo
	s_cbranch_execz .LBB0_13
; %bb.11:
	v_mad_co_u64_u32 v[0:1], null, s4, v14, 0
	s_load_b64 s[0:1], s[0:1], 0x58
	v_dual_mov_b32 v13, 0 :: v_dual_add_nc_u32 v22, 27, v12
	v_add_nc_u32_e32 v24, 54, v12
	v_add_nc_u32_e32 v26, 0x51, v12
	s_delay_alu instid0(VALU_DEP_3)
	v_dual_mov_b32 v25, v13 :: v_dual_add_nc_u32 v30, 0x6c, v12
	v_mad_co_u64_u32 v[1:2], null, s5, v14, v[1:2]
	v_lshl_add_u32 v2, v12, 4, v20
	v_mov_b32_e32 v23, v13
	v_lshlrev_b64_e32 v[28:29], 4, v[12:13]
	ds_load_b128 v[3:6], v2
	ds_load_b128 v[7:10], v2 offset:432
	v_lshlrev_b64_e32 v[0:1], 4, v[0:1]
	ds_load_b128 v[14:17], v2 offset:864
	ds_load_b128 v[18:21], v2 offset:1296
	v_lshlrev_b64_e32 v[22:23], 4, v[22:23]
	v_mov_b32_e32 v27, v13
	v_lshlrev_b64_e32 v[24:25], 4, v[24:25]
	v_mov_b32_e32 v31, v13
	s_wait_kmcnt 0x0
	v_add_co_u32 v0, vcc_lo, s0, v0
	v_add_co_ci_u32_e32 v1, vcc_lo, s1, v1, vcc_lo
	v_lshlrev_b64_e32 v[26:27], 4, v[26:27]
	s_delay_alu instid0(VALU_DEP_3) | instskip(SKIP_1) | instid1(VALU_DEP_3)
	v_add_co_u32 v28, vcc_lo, v0, v28
	s_wait_alu 0xfffd
	v_add_co_ci_u32_e32 v29, vcc_lo, v1, v29, vcc_lo
	v_add_co_u32 v22, vcc_lo, v0, v22
	s_wait_alu 0xfffd
	v_add_co_ci_u32_e32 v23, vcc_lo, v1, v23, vcc_lo
	;; [unrolled: 3-line block ×4, first 2 shown]
	s_wait_dscnt 0x3
	global_store_b128 v[28:29], v[3:6], off
	s_wait_dscnt 0x2
	global_store_b128 v[22:23], v[7:10], off
	;; [unrolled: 2-line block ×4, first 2 shown]
	v_dual_mov_b32 v15, v13 :: v_dual_add_nc_u32 v14, 0x87, v12
	v_add_nc_u32_e32 v16, 0xa2, v12
	v_lshlrev_b64_e32 v[3:4], 4, v[30:31]
	v_dual_mov_b32 v17, v13 :: v_dual_add_nc_u32 v22, 0xbd, v12
	s_delay_alu instid0(VALU_DEP_4) | instskip(SKIP_1) | instid1(VALU_DEP_4)
	v_lshlrev_b64_e32 v[14:15], 4, v[14:15]
	v_dual_mov_b32 v23, v13 :: v_dual_add_nc_u32 v34, 0xd8, v12
	v_add_co_u32 v26, vcc_lo, v0, v3
	s_wait_alu 0xfffd
	v_add_co_ci_u32_e32 v27, vcc_lo, v1, v4, vcc_lo
	s_delay_alu instid0(VALU_DEP_4)
	v_add_co_u32 v28, vcc_lo, v0, v14
	ds_load_b128 v[3:6], v2 offset:1728
	ds_load_b128 v[7:10], v2 offset:2160
	s_wait_alu 0xfffd
	v_add_co_ci_u32_e32 v29, vcc_lo, v1, v15, vcc_lo
	v_lshlrev_b64_e32 v[30:31], 4, v[16:17]
	ds_load_b128 v[14:17], v2 offset:2592
	ds_load_b128 v[18:21], v2 offset:3024
	v_mov_b32_e32 v35, v13
	v_lshlrev_b64_e32 v[32:33], 4, v[22:23]
	ds_load_b128 v[22:25], v2 offset:3456
	v_add_co_u32 v30, vcc_lo, v0, v30
	v_lshlrev_b64_e32 v[34:35], 4, v[34:35]
	s_wait_alu 0xfffd
	v_add_co_ci_u32_e32 v31, vcc_lo, v1, v31, vcc_lo
	v_add_co_u32 v32, vcc_lo, v0, v32
	s_wait_alu 0xfffd
	v_add_co_ci_u32_e32 v33, vcc_lo, v1, v33, vcc_lo
	v_add_co_u32 v34, vcc_lo, v0, v34
	s_wait_alu 0xfffd
	v_add_co_ci_u32_e32 v35, vcc_lo, v1, v35, vcc_lo
	v_cmp_eq_u32_e32 vcc_lo, 26, v12
	s_wait_dscnt 0x4
	global_store_b128 v[26:27], v[3:6], off
	s_wait_dscnt 0x3
	global_store_b128 v[28:29], v[7:10], off
	s_wait_dscnt 0x2
	global_store_b128 v[30:31], v[14:17], off
	s_wait_dscnt 0x1
	global_store_b128 v[32:33], v[18:21], off
	s_wait_dscnt 0x0
	global_store_b128 v[34:35], v[22:25], off
	s_and_b32 exec_lo, exec_lo, vcc_lo
	s_cbranch_execz .LBB0_13
; %bb.12:
	ds_load_b128 v[2:5], v2 offset:3472
	s_wait_dscnt 0x0
	global_store_b128 v[0:1], v[2:5], off offset:3888
.LBB0_13:
	s_nop 0
	s_sendmsg sendmsg(MSG_DEALLOC_VGPRS)
	s_endpgm
	.section	.rodata,"a",@progbits
	.p2align	6, 0x0
	.amdhsa_kernel fft_rtc_back_len243_factors_9_9_3_wgs_108_tpt_27_halfLds_dim1_dp_op_CI_CI_unitstride_sbrr_R2C_dirReg
		.amdhsa_group_segment_fixed_size 0
		.amdhsa_private_segment_fixed_size 0
		.amdhsa_kernarg_size 96
		.amdhsa_user_sgpr_count 2
		.amdhsa_user_sgpr_dispatch_ptr 0
		.amdhsa_user_sgpr_queue_ptr 0
		.amdhsa_user_sgpr_kernarg_segment_ptr 1
		.amdhsa_user_sgpr_dispatch_id 0
		.amdhsa_user_sgpr_private_segment_size 0
		.amdhsa_wavefront_size32 1
		.amdhsa_uses_dynamic_stack 0
		.amdhsa_enable_private_segment 0
		.amdhsa_system_sgpr_workgroup_id_x 1
		.amdhsa_system_sgpr_workgroup_id_y 0
		.amdhsa_system_sgpr_workgroup_id_z 0
		.amdhsa_system_sgpr_workgroup_info 0
		.amdhsa_system_vgpr_workitem_id 0
		.amdhsa_next_free_vgpr 94
		.amdhsa_next_free_sgpr 24
		.amdhsa_reserve_vcc 1
		.amdhsa_float_round_mode_32 0
		.amdhsa_float_round_mode_16_64 0
		.amdhsa_float_denorm_mode_32 3
		.amdhsa_float_denorm_mode_16_64 3
		.amdhsa_fp16_overflow 0
		.amdhsa_workgroup_processor_mode 1
		.amdhsa_memory_ordered 1
		.amdhsa_forward_progress 0
		.amdhsa_round_robin_scheduling 0
		.amdhsa_exception_fp_ieee_invalid_op 0
		.amdhsa_exception_fp_denorm_src 0
		.amdhsa_exception_fp_ieee_div_zero 0
		.amdhsa_exception_fp_ieee_overflow 0
		.amdhsa_exception_fp_ieee_underflow 0
		.amdhsa_exception_fp_ieee_inexact 0
		.amdhsa_exception_int_div_zero 0
	.end_amdhsa_kernel
	.text
.Lfunc_end0:
	.size	fft_rtc_back_len243_factors_9_9_3_wgs_108_tpt_27_halfLds_dim1_dp_op_CI_CI_unitstride_sbrr_R2C_dirReg, .Lfunc_end0-fft_rtc_back_len243_factors_9_9_3_wgs_108_tpt_27_halfLds_dim1_dp_op_CI_CI_unitstride_sbrr_R2C_dirReg
                                        ; -- End function
	.section	.AMDGPU.csdata,"",@progbits
; Kernel info:
; codeLenInByte = 5628
; NumSgprs: 26
; NumVgprs: 94
; ScratchSize: 0
; MemoryBound: 0
; FloatMode: 240
; IeeeMode: 1
; LDSByteSize: 0 bytes/workgroup (compile time only)
; SGPRBlocks: 3
; VGPRBlocks: 11
; NumSGPRsForWavesPerEU: 26
; NumVGPRsForWavesPerEU: 94
; Occupancy: 16
; WaveLimiterHint : 1
; COMPUTE_PGM_RSRC2:SCRATCH_EN: 0
; COMPUTE_PGM_RSRC2:USER_SGPR: 2
; COMPUTE_PGM_RSRC2:TRAP_HANDLER: 0
; COMPUTE_PGM_RSRC2:TGID_X_EN: 1
; COMPUTE_PGM_RSRC2:TGID_Y_EN: 0
; COMPUTE_PGM_RSRC2:TGID_Z_EN: 0
; COMPUTE_PGM_RSRC2:TIDIG_COMP_CNT: 0
	.text
	.p2alignl 7, 3214868480
	.fill 96, 4, 3214868480
	.type	__hip_cuid_17738398212d3477,@object ; @__hip_cuid_17738398212d3477
	.section	.bss,"aw",@nobits
	.globl	__hip_cuid_17738398212d3477
__hip_cuid_17738398212d3477:
	.byte	0                               ; 0x0
	.size	__hip_cuid_17738398212d3477, 1

	.ident	"AMD clang version 19.0.0git (https://github.com/RadeonOpenCompute/llvm-project roc-6.4.0 25133 c7fe45cf4b819c5991fe208aaa96edf142730f1d)"
	.section	".note.GNU-stack","",@progbits
	.addrsig
	.addrsig_sym __hip_cuid_17738398212d3477
	.amdgpu_metadata
---
amdhsa.kernels:
  - .args:
      - .actual_access:  read_only
        .address_space:  global
        .offset:         0
        .size:           8
        .value_kind:     global_buffer
      - .actual_access:  read_only
        .address_space:  global
        .offset:         8
        .size:           8
        .value_kind:     global_buffer
      - .actual_access:  read_only
        .address_space:  global
        .offset:         16
        .size:           8
        .value_kind:     global_buffer
      - .actual_access:  read_only
        .address_space:  global
        .offset:         24
        .size:           8
        .value_kind:     global_buffer
      - .offset:         32
        .size:           8
        .value_kind:     by_value
      - .actual_access:  read_only
        .address_space:  global
        .offset:         40
        .size:           8
        .value_kind:     global_buffer
      - .actual_access:  read_only
        .address_space:  global
        .offset:         48
        .size:           8
        .value_kind:     global_buffer
      - .offset:         56
        .size:           4
        .value_kind:     by_value
      - .actual_access:  read_only
        .address_space:  global
        .offset:         64
        .size:           8
        .value_kind:     global_buffer
      - .actual_access:  read_only
        .address_space:  global
        .offset:         72
        .size:           8
        .value_kind:     global_buffer
      - .actual_access:  read_only
        .address_space:  global
        .offset:         80
        .size:           8
        .value_kind:     global_buffer
      - .actual_access:  write_only
        .address_space:  global
        .offset:         88
        .size:           8
        .value_kind:     global_buffer
    .group_segment_fixed_size: 0
    .kernarg_segment_align: 8
    .kernarg_segment_size: 96
    .language:       OpenCL C
    .language_version:
      - 2
      - 0
    .max_flat_workgroup_size: 108
    .name:           fft_rtc_back_len243_factors_9_9_3_wgs_108_tpt_27_halfLds_dim1_dp_op_CI_CI_unitstride_sbrr_R2C_dirReg
    .private_segment_fixed_size: 0
    .sgpr_count:     26
    .sgpr_spill_count: 0
    .symbol:         fft_rtc_back_len243_factors_9_9_3_wgs_108_tpt_27_halfLds_dim1_dp_op_CI_CI_unitstride_sbrr_R2C_dirReg.kd
    .uniform_work_group_size: 1
    .uses_dynamic_stack: false
    .vgpr_count:     94
    .vgpr_spill_count: 0
    .wavefront_size: 32
    .workgroup_processor_mode: 1
amdhsa.target:   amdgcn-amd-amdhsa--gfx1201
amdhsa.version:
  - 1
  - 2
...

	.end_amdgpu_metadata
